;; amdgpu-corpus repo=ROCm/rocFFT kind=compiled arch=gfx906 opt=O3
	.text
	.amdgcn_target "amdgcn-amd-amdhsa--gfx906"
	.amdhsa_code_object_version 6
	.protected	fft_rtc_back_len1764_factors_2_2_3_3_7_7_wgs_126_tpt_126_halfLds_sp_op_CI_CI_sbrr_dirReg ; -- Begin function fft_rtc_back_len1764_factors_2_2_3_3_7_7_wgs_126_tpt_126_halfLds_sp_op_CI_CI_sbrr_dirReg
	.globl	fft_rtc_back_len1764_factors_2_2_3_3_7_7_wgs_126_tpt_126_halfLds_sp_op_CI_CI_sbrr_dirReg
	.p2align	8
	.type	fft_rtc_back_len1764_factors_2_2_3_3_7_7_wgs_126_tpt_126_halfLds_sp_op_CI_CI_sbrr_dirReg,@function
fft_rtc_back_len1764_factors_2_2_3_3_7_7_wgs_126_tpt_126_halfLds_sp_op_CI_CI_sbrr_dirReg: ; @fft_rtc_back_len1764_factors_2_2_3_3_7_7_wgs_126_tpt_126_halfLds_sp_op_CI_CI_sbrr_dirReg
; %bb.0:
	s_load_dwordx4 s[16:19], s[4:5], 0x18
	s_load_dwordx4 s[12:15], s[4:5], 0x0
	;; [unrolled: 1-line block ×3, first 2 shown]
	v_mul_u32_u24_e32 v1, 0x209, v0
	v_mov_b32_e32 v7, 0
	s_waitcnt lgkmcnt(0)
	s_load_dwordx2 s[20:21], s[16:17], 0x0
	s_load_dwordx2 s[2:3], s[18:19], 0x0
	v_cmp_lt_u64_e64 s[0:1], s[14:15], 2
	v_mov_b32_e32 v5, 0
	v_add_u32_sdwa v9, s6, v1 dst_sel:DWORD dst_unused:UNUSED_PAD src0_sel:DWORD src1_sel:WORD_1
	v_mov_b32_e32 v10, v7
	s_and_b64 vcc, exec, s[0:1]
	v_mov_b32_e32 v6, 0
	s_cbranch_vccnz .LBB0_8
; %bb.1:
	s_load_dwordx2 s[0:1], s[4:5], 0x10
	s_add_u32 s6, s18, 8
	s_addc_u32 s7, s19, 0
	s_add_u32 s22, s16, 8
	s_addc_u32 s23, s17, 0
	v_mov_b32_e32 v5, 0
	s_waitcnt lgkmcnt(0)
	s_add_u32 s24, s0, 8
	v_mov_b32_e32 v6, 0
	v_mov_b32_e32 v1, v5
	s_addc_u32 s25, s1, 0
	s_mov_b64 s[26:27], 1
	v_mov_b32_e32 v2, v6
.LBB0_2:                                ; =>This Inner Loop Header: Depth=1
	s_load_dwordx2 s[28:29], s[24:25], 0x0
                                        ; implicit-def: $vgpr3_vgpr4
	s_waitcnt lgkmcnt(0)
	v_or_b32_e32 v8, s29, v10
	v_cmp_ne_u64_e32 vcc, 0, v[7:8]
	s_and_saveexec_b64 s[0:1], vcc
	s_xor_b64 s[30:31], exec, s[0:1]
	s_cbranch_execz .LBB0_4
; %bb.3:                                ;   in Loop: Header=BB0_2 Depth=1
	v_cvt_f32_u32_e32 v3, s28
	v_cvt_f32_u32_e32 v4, s29
	s_sub_u32 s0, 0, s28
	s_subb_u32 s1, 0, s29
	v_mac_f32_e32 v3, 0x4f800000, v4
	v_rcp_f32_e32 v3, v3
	v_mul_f32_e32 v3, 0x5f7ffffc, v3
	v_mul_f32_e32 v4, 0x2f800000, v3
	v_trunc_f32_e32 v4, v4
	v_mac_f32_e32 v3, 0xcf800000, v4
	v_cvt_u32_f32_e32 v4, v4
	v_cvt_u32_f32_e32 v3, v3
	v_mul_lo_u32 v8, s0, v4
	v_mul_hi_u32 v11, s0, v3
	v_mul_lo_u32 v13, s1, v3
	v_mul_lo_u32 v12, s0, v3
	v_add_u32_e32 v8, v11, v8
	v_add_u32_e32 v8, v8, v13
	v_mul_hi_u32 v11, v3, v12
	v_mul_lo_u32 v13, v3, v8
	v_mul_hi_u32 v15, v3, v8
	v_mul_hi_u32 v14, v4, v12
	v_mul_lo_u32 v12, v4, v12
	v_mul_hi_u32 v16, v4, v8
	v_add_co_u32_e32 v11, vcc, v11, v13
	v_addc_co_u32_e32 v13, vcc, 0, v15, vcc
	v_mul_lo_u32 v8, v4, v8
	v_add_co_u32_e32 v11, vcc, v11, v12
	v_addc_co_u32_e32 v11, vcc, v13, v14, vcc
	v_addc_co_u32_e32 v12, vcc, 0, v16, vcc
	v_add_co_u32_e32 v8, vcc, v11, v8
	v_addc_co_u32_e32 v11, vcc, 0, v12, vcc
	v_add_co_u32_e32 v3, vcc, v3, v8
	v_addc_co_u32_e32 v4, vcc, v4, v11, vcc
	v_mul_lo_u32 v8, s0, v4
	v_mul_hi_u32 v11, s0, v3
	v_mul_lo_u32 v12, s1, v3
	v_mul_lo_u32 v13, s0, v3
	v_add_u32_e32 v8, v11, v8
	v_add_u32_e32 v8, v8, v12
	v_mul_lo_u32 v14, v3, v8
	v_mul_hi_u32 v15, v3, v13
	v_mul_hi_u32 v16, v3, v8
	;; [unrolled: 1-line block ×3, first 2 shown]
	v_mul_lo_u32 v13, v4, v13
	v_mul_hi_u32 v11, v4, v8
	v_add_co_u32_e32 v14, vcc, v15, v14
	v_addc_co_u32_e32 v15, vcc, 0, v16, vcc
	v_mul_lo_u32 v8, v4, v8
	v_add_co_u32_e32 v13, vcc, v14, v13
	v_addc_co_u32_e32 v12, vcc, v15, v12, vcc
	v_addc_co_u32_e32 v11, vcc, 0, v11, vcc
	v_add_co_u32_e32 v8, vcc, v12, v8
	v_addc_co_u32_e32 v11, vcc, 0, v11, vcc
	v_add_co_u32_e32 v8, vcc, v3, v8
	v_addc_co_u32_e32 v11, vcc, v4, v11, vcc
	v_mad_u64_u32 v[3:4], s[0:1], v9, v11, 0
	v_mul_hi_u32 v12, v9, v8
	v_add_co_u32_e32 v13, vcc, v12, v3
	v_addc_co_u32_e32 v14, vcc, 0, v4, vcc
	v_mad_u64_u32 v[3:4], s[0:1], v10, v8, 0
	v_mad_u64_u32 v[11:12], s[0:1], v10, v11, 0
	v_add_co_u32_e32 v3, vcc, v13, v3
	v_addc_co_u32_e32 v3, vcc, v14, v4, vcc
	v_addc_co_u32_e32 v4, vcc, 0, v12, vcc
	v_add_co_u32_e32 v8, vcc, v3, v11
	v_addc_co_u32_e32 v11, vcc, 0, v4, vcc
	v_mul_lo_u32 v12, s29, v8
	v_mul_lo_u32 v13, s28, v11
	v_mad_u64_u32 v[3:4], s[0:1], s28, v8, 0
	v_add3_u32 v4, v4, v13, v12
	v_sub_u32_e32 v12, v10, v4
	v_mov_b32_e32 v13, s29
	v_sub_co_u32_e32 v3, vcc, v9, v3
	v_subb_co_u32_e64 v12, s[0:1], v12, v13, vcc
	v_subrev_co_u32_e64 v13, s[0:1], s28, v3
	v_subbrev_co_u32_e64 v12, s[0:1], 0, v12, s[0:1]
	v_cmp_le_u32_e64 s[0:1], s29, v12
	v_cndmask_b32_e64 v14, 0, -1, s[0:1]
	v_cmp_le_u32_e64 s[0:1], s28, v13
	v_cndmask_b32_e64 v13, 0, -1, s[0:1]
	v_cmp_eq_u32_e64 s[0:1], s29, v12
	v_cndmask_b32_e64 v12, v14, v13, s[0:1]
	v_add_co_u32_e64 v13, s[0:1], 2, v8
	v_addc_co_u32_e64 v14, s[0:1], 0, v11, s[0:1]
	v_add_co_u32_e64 v15, s[0:1], 1, v8
	v_addc_co_u32_e64 v16, s[0:1], 0, v11, s[0:1]
	v_subb_co_u32_e32 v4, vcc, v10, v4, vcc
	v_cmp_ne_u32_e64 s[0:1], 0, v12
	v_cmp_le_u32_e32 vcc, s29, v4
	v_cndmask_b32_e64 v12, v16, v14, s[0:1]
	v_cndmask_b32_e64 v14, 0, -1, vcc
	v_cmp_le_u32_e32 vcc, s28, v3
	v_cndmask_b32_e64 v3, 0, -1, vcc
	v_cmp_eq_u32_e32 vcc, s29, v4
	v_cndmask_b32_e32 v3, v14, v3, vcc
	v_cmp_ne_u32_e32 vcc, 0, v3
	v_cndmask_b32_e64 v3, v15, v13, s[0:1]
	v_cndmask_b32_e32 v4, v11, v12, vcc
	v_cndmask_b32_e32 v3, v8, v3, vcc
.LBB0_4:                                ;   in Loop: Header=BB0_2 Depth=1
	s_andn2_saveexec_b64 s[0:1], s[30:31]
	s_cbranch_execz .LBB0_6
; %bb.5:                                ;   in Loop: Header=BB0_2 Depth=1
	v_cvt_f32_u32_e32 v3, s28
	s_sub_i32 s30, 0, s28
	v_rcp_iflag_f32_e32 v3, v3
	v_mul_f32_e32 v3, 0x4f7ffffe, v3
	v_cvt_u32_f32_e32 v3, v3
	v_mul_lo_u32 v4, s30, v3
	v_mul_hi_u32 v4, v3, v4
	v_add_u32_e32 v3, v3, v4
	v_mul_hi_u32 v3, v9, v3
	v_mul_lo_u32 v4, v3, s28
	v_add_u32_e32 v8, 1, v3
	v_sub_u32_e32 v4, v9, v4
	v_subrev_u32_e32 v11, s28, v4
	v_cmp_le_u32_e32 vcc, s28, v4
	v_cndmask_b32_e32 v4, v4, v11, vcc
	v_cndmask_b32_e32 v3, v3, v8, vcc
	v_add_u32_e32 v8, 1, v3
	v_cmp_le_u32_e32 vcc, s28, v4
	v_cndmask_b32_e32 v3, v3, v8, vcc
	v_mov_b32_e32 v4, v7
.LBB0_6:                                ;   in Loop: Header=BB0_2 Depth=1
	s_or_b64 exec, exec, s[0:1]
	v_mul_lo_u32 v8, v4, s28
	v_mul_lo_u32 v13, v3, s29
	v_mad_u64_u32 v[11:12], s[0:1], v3, s28, 0
	s_load_dwordx2 s[0:1], s[22:23], 0x0
	s_load_dwordx2 s[28:29], s[6:7], 0x0
	v_add3_u32 v8, v12, v13, v8
	v_sub_co_u32_e32 v9, vcc, v9, v11
	v_subb_co_u32_e32 v8, vcc, v10, v8, vcc
	s_waitcnt lgkmcnt(0)
	v_mul_lo_u32 v10, s0, v8
	v_mul_lo_u32 v11, s1, v9
	v_mad_u64_u32 v[5:6], s[0:1], s0, v9, v[5:6]
	v_mul_lo_u32 v8, s28, v8
	v_mul_lo_u32 v12, s29, v9
	v_mad_u64_u32 v[1:2], s[0:1], s28, v9, v[1:2]
	s_add_u32 s26, s26, 1
	s_addc_u32 s27, s27, 0
	s_add_u32 s6, s6, 8
	v_add3_u32 v2, v12, v2, v8
	s_addc_u32 s7, s7, 0
	v_mov_b32_e32 v8, s14
	s_add_u32 s22, s22, 8
	v_mov_b32_e32 v9, s15
	s_addc_u32 s23, s23, 0
	v_cmp_ge_u64_e32 vcc, s[26:27], v[8:9]
	s_add_u32 s24, s24, 8
	v_add3_u32 v6, v11, v6, v10
	s_addc_u32 s25, s25, 0
	s_cbranch_vccnz .LBB0_9
; %bb.7:                                ;   in Loop: Header=BB0_2 Depth=1
	v_mov_b32_e32 v10, v4
	v_mov_b32_e32 v9, v3
	s_branch .LBB0_2
.LBB0_8:
	v_mov_b32_e32 v1, v5
	v_mov_b32_e32 v3, v9
	;; [unrolled: 1-line block ×4, first 2 shown]
.LBB0_9:
	s_load_dwordx2 s[0:1], s[4:5], 0x28
	s_lshl_b64 s[14:15], s[14:15], 3
	s_add_u32 s4, s18, s14
	s_addc_u32 s5, s19, s15
                                        ; implicit-def: $sgpr18_sgpr19
                                        ; implicit-def: $vgpr36
                                        ; implicit-def: $vgpr37
                                        ; implicit-def: $vgpr38
                                        ; implicit-def: $vgpr39
                                        ; implicit-def: $vgpr40
                                        ; implicit-def: $vgpr41
                                        ; implicit-def: $vgpr42
	s_waitcnt lgkmcnt(0)
	v_cmp_gt_u64_e32 vcc, s[0:1], v[3:4]
	v_cmp_le_u64_e64 s[0:1], s[0:1], v[3:4]
	s_and_saveexec_b64 s[6:7], s[0:1]
	s_xor_b64 s[0:1], exec, s[6:7]
; %bb.10:
	s_mov_b32 s6, 0x2082083
	v_mul_hi_u32 v5, v0, s6
	s_mov_b64 s[18:19], 0
	v_mul_u32_u24_e32 v5, 0x7e, v5
	v_sub_u32_e32 v36, v0, v5
	v_add_u32_e32 v37, 0x7e, v36
	v_add_u32_e32 v38, 0xfc, v36
	v_add_u32_e32 v39, 0x17a, v36
	v_add_u32_e32 v40, 0x1f8, v36
	v_add_u32_e32 v41, 0x276, v36
	v_add_u32_e32 v42, 0x2f4, v36
                                        ; implicit-def: $vgpr0
                                        ; implicit-def: $vgpr5_vgpr6
; %bb.11:
	s_or_saveexec_b64 s[6:7], s[0:1]
	v_mov_b32_e32 v33, s19
	v_mov_b32_e32 v23, s19
	;; [unrolled: 1-line block ×14, first 2 shown]
                                        ; implicit-def: $vgpr35
                                        ; implicit-def: $vgpr9
                                        ; implicit-def: $vgpr11
                                        ; implicit-def: $vgpr14
                                        ; implicit-def: $vgpr7
                                        ; implicit-def: $vgpr19
                                        ; implicit-def: $vgpr21
	s_xor_b64 exec, exec, s[6:7]
	s_cbranch_execz .LBB0_13
; %bb.12:
	s_add_u32 s0, s16, s14
	s_mov_b32 s14, 0x2082083
	v_mul_hi_u32 v7, v0, s14
	s_addc_u32 s1, s17, s15
	s_load_dwordx2 s[0:1], s[0:1], 0x0
	v_lshlrev_b64 v[5:6], 3, v[5:6]
	v_mul_u32_u24_e32 v7, 0x7e, v7
	v_sub_u32_e32 v36, v0, v7
	v_mad_u64_u32 v[7:8], s[14:15], s20, v36, 0
	s_waitcnt lgkmcnt(0)
	v_mul_lo_u32 v13, s1, v3
	v_mul_lo_u32 v14, s0, v4
	v_mad_u64_u32 v[9:10], s[0:1], s0, v3, 0
	v_mov_b32_e32 v0, v8
	v_mad_u64_u32 v[11:12], s[0:1], s21, v36, v[0:1]
	v_add3_u32 v10, v10, v14, v13
	v_lshlrev_b64 v[9:10], 3, v[9:10]
	v_mov_b32_e32 v8, v11
	v_mov_b32_e32 v0, s9
	v_add_co_u32_e64 v11, s[0:1], s8, v9
	v_add_u32_e32 v12, 0x372, v36
	v_addc_co_u32_e64 v0, s[0:1], v0, v10, s[0:1]
	v_mad_u64_u32 v[9:10], s[0:1], s20, v12, 0
	v_add_co_u32_e64 v13, s[0:1], v11, v5
	v_addc_co_u32_e64 v14, s[0:1], v0, v6, s[0:1]
	v_mov_b32_e32 v0, v10
	v_add_u32_e32 v37, 0x7e, v36
	v_lshlrev_b64 v[5:6], 3, v[7:8]
	v_mad_u64_u32 v[7:8], s[0:1], s21, v12, v[0:1]
	v_mad_u64_u32 v[11:12], s[0:1], s20, v37, 0
	v_add_co_u32_e64 v43, s[0:1], v13, v5
	v_mov_b32_e32 v10, v7
	v_mov_b32_e32 v0, v12
	v_addc_co_u32_e64 v44, s[0:1], v14, v6, s[0:1]
	v_lshlrev_b64 v[5:6], 3, v[9:10]
	v_mad_u64_u32 v[7:8], s[0:1], s21, v37, v[0:1]
	v_add_u32_e32 v10, 0x3f0, v36
	v_mad_u64_u32 v[8:9], s[0:1], s20, v10, 0
	v_add_co_u32_e64 v45, s[0:1], v13, v5
	v_mov_b32_e32 v0, v9
	v_addc_co_u32_e64 v46, s[0:1], v14, v6, s[0:1]
	v_mov_b32_e32 v12, v7
	v_mad_u64_u32 v[9:10], s[0:1], s21, v10, v[0:1]
	v_add_u32_e32 v38, 0xfc, v36
	v_lshlrev_b64 v[5:6], 3, v[11:12]
	v_mad_u64_u32 v[10:11], s[0:1], s20, v38, 0
	v_add_co_u32_e64 v47, s[0:1], v13, v5
	v_mov_b32_e32 v0, v11
	v_addc_co_u32_e64 v48, s[0:1], v14, v6, s[0:1]
	v_lshlrev_b64 v[5:6], 3, v[8:9]
	v_mad_u64_u32 v[7:8], s[0:1], s21, v38, v[0:1]
	v_add_u32_e32 v12, 0x46e, v36
	v_mad_u64_u32 v[8:9], s[0:1], s20, v12, 0
	v_add_co_u32_e64 v49, s[0:1], v13, v5
	v_mov_b32_e32 v11, v7
	v_mov_b32_e32 v0, v9
	v_addc_co_u32_e64 v50, s[0:1], v14, v6, s[0:1]
	v_lshlrev_b64 v[5:6], 3, v[10:11]
	v_mad_u64_u32 v[9:10], s[0:1], s21, v12, v[0:1]
	v_add_u32_e32 v39, 0x17a, v36
	v_mad_u64_u32 v[10:11], s[0:1], s20, v39, 0
	v_add_co_u32_e64 v51, s[0:1], v13, v5
	v_mov_b32_e32 v0, v11
	v_addc_co_u32_e64 v52, s[0:1], v14, v6, s[0:1]
	v_lshlrev_b64 v[5:6], 3, v[8:9]
	v_mad_u64_u32 v[7:8], s[0:1], s21, v39, v[0:1]
	v_add_u32_e32 v12, 0x4ec, v36
	v_mad_u64_u32 v[8:9], s[0:1], s20, v12, 0
	v_add_co_u32_e64 v53, s[0:1], v13, v5
	v_mov_b32_e32 v11, v7
	v_mov_b32_e32 v0, v9
	v_addc_co_u32_e64 v54, s[0:1], v14, v6, s[0:1]
	v_lshlrev_b64 v[5:6], 3, v[10:11]
	v_mad_u64_u32 v[9:10], s[0:1], s21, v12, v[0:1]
	v_add_u32_e32 v40, 0x1f8, v36
	;; [unrolled: 15-line block ×4, first 2 shown]
	v_mad_u64_u32 v[10:11], s[0:1], s20, v42, 0
	v_add_co_u32_e64 v63, s[0:1], v13, v5
	v_mov_b32_e32 v0, v11
	v_addc_co_u32_e64 v64, s[0:1], v14, v6, s[0:1]
	v_lshlrev_b64 v[5:6], 3, v[8:9]
	v_mad_u64_u32 v[7:8], s[0:1], s21, v42, v[0:1]
	v_add_u32_e32 v12, 0x666, v36
	v_mad_u64_u32 v[8:9], s[0:1], s20, v12, 0
	v_add_co_u32_e64 v65, s[0:1], v13, v5
	v_mov_b32_e32 v11, v7
	v_mov_b32_e32 v0, v9
	v_addc_co_u32_e64 v66, s[0:1], v14, v6, s[0:1]
	v_lshlrev_b64 v[5:6], 3, v[10:11]
	v_mad_u64_u32 v[9:10], s[0:1], s21, v12, v[0:1]
	v_add_co_u32_e64 v67, s[0:1], v13, v5
	v_addc_co_u32_e64 v68, s[0:1], v14, v6, s[0:1]
	v_lshlrev_b64 v[5:6], 3, v[8:9]
	v_add_co_u32_e64 v69, s[0:1], v13, v5
	v_addc_co_u32_e64 v70, s[0:1], v14, v6, s[0:1]
	global_load_dwordx2 v[32:33], v[43:44], off
	global_load_dwordx2 v[34:35], v[45:46], off
	;; [unrolled: 1-line block ×14, first 2 shown]
.LBB0_13:
	s_or_b64 exec, exec, s[6:7]
	s_waitcnt vmcnt(12)
	v_sub_f32_e32 v44, v32, v34
	v_sub_f32_e32 v48, v33, v35
	s_waitcnt vmcnt(10)
	v_sub_f32_e32 v35, v22, v20
	v_fma_f32 v43, v32, 2.0, -v44
	v_fma_f32 v47, v33, 2.0, -v48
	v_fma_f32 v34, v22, 2.0, -v35
	s_waitcnt vmcnt(8)
	v_sub_f32_e32 v18, v24, v18
	s_waitcnt vmcnt(6)
	v_sub_f32_e32 v46, v26, v8
	;; [unrolled: 2-line block ×3, first 2 shown]
	v_lshl_add_u32 v8, v36, 3, 0
	v_lshl_add_u32 v33, v37, 3, 0
	s_waitcnt vmcnt(2)
	v_sub_f32_e32 v13, v30, v13
	s_waitcnt vmcnt(0)
	v_sub_f32_e32 v6, v15, v6
	v_fma_f32 v17, v24, 2.0, -v18
	v_fma_f32 v45, v26, 2.0, -v46
	;; [unrolled: 1-line block ×3, first 2 shown]
	ds_write_b64 v8, v[43:44]
	ds_write_b64 v33, v[34:35]
	v_fma_f32 v12, v30, 2.0, -v13
	v_lshl_add_u32 v34, v38, 3, 0
	v_lshl_add_u32 v35, v39, 3, 0
	v_fma_f32 v5, v15, 2.0, -v6
	v_lshl_add_u32 v44, v40, 3, 0
	v_lshl_add_u32 v24, v41, 3, 0
	;; [unrolled: 1-line block ×3, first 2 shown]
	v_lshlrev_b32_e32 v0, 2, v36
	v_lshlrev_b32_e32 v68, 2, v39
	ds_write_b64 v34, v[17:18]
	ds_write_b64 v35, v[45:46]
	;; [unrolled: 1-line block ×5, first 2 shown]
	v_sub_u32_e32 v0, v8, v0
	v_lshlrev_b32_e32 v5, 2, v41
	v_lshlrev_b32_e32 v45, 2, v37
	;; [unrolled: 1-line block ×3, first 2 shown]
	v_sub_u32_e32 v64, v35, v68
	v_lshlrev_b32_e32 v56, 2, v40
	v_lshlrev_b32_e32 v32, 2, v42
	v_sub_f32_e32 v21, v23, v21
	v_sub_f32_e32 v9, v27, v9
	s_load_dwordx2 s[4:5], s[4:5], 0x0
	s_waitcnt lgkmcnt(0)
	s_barrier
	ds_read_b32 v26, v0
	v_add_u32_e32 v43, 0xc00, v0
	v_sub_u32_e32 v28, v24, v5
	v_sub_u32_e32 v60, v33, v45
	;; [unrolled: 1-line block ×3, first 2 shown]
	v_add_u32_e32 v49, 0x1000, v0
	v_sub_u32_e32 v50, v44, v56
	v_add_u32_e32 v51, 0x1400, v0
	v_sub_u32_e32 v52, v30, v32
	ds_read_b32 v57, v64
	ds_read_b32 v58, v50
	;; [unrolled: 1-line block ×6, first 2 shown]
	ds_read_b32 v46, v0 offset:6552
	ds_read2_b32 v[17:18], v43 offset0:114 offset1:240
	ds_read2_b32 v[12:13], v49 offset0:110 offset1:236
	;; [unrolled: 1-line block ×3, first 2 shown]
	s_waitcnt lgkmcnt(0)
	s_barrier
	ds_write_b64 v8, v[47:48]
	v_fma_f32 v20, v23, 2.0, -v21
	v_sub_f32_e32 v23, v25, v19
	v_fma_f32 v8, v27, 2.0, -v9
	v_sub_f32_e32 v11, v29, v11
	v_sub_f32_e32 v15, v31, v14
	v_fma_f32 v22, v25, 2.0, -v23
	v_fma_f32 v10, v29, 2.0, -v11
	;; [unrolled: 1-line block ×3, first 2 shown]
	ds_write_b64 v33, v[20:21]
	ds_write_b64 v34, v[22:23]
	;; [unrolled: 1-line block ×5, first 2 shown]
	v_sub_f32_e32 v8, v16, v7
	v_fma_f32 v7, v16, 2.0, -v8
	v_and_b32_e32 v9, 1, v36
	ds_write_b64 v30, v[7:8]
	v_lshlrev_b32_e32 v7, 3, v9
	s_waitcnt lgkmcnt(0)
	s_barrier
	global_load_dwordx2 v[7:8], v7, s[12:13]
	ds_read2_b32 v[23:24], v43 offset0:114 offset1:240
	ds_read_b32 v16, v28
	ds_read_b32 v11, v52
	s_movk_i32 s0, 0xfc
	v_lshlrev_b32_e32 v15, 1, v36
	v_and_or_b32 v15, v15, s0, v9
	v_lshl_add_u32 v53, v15, 2, 0
	s_movk_i32 s0, 0x1fc
	v_lshlrev_b32_e32 v15, 1, v37
	v_and_or_b32 v15, v15, s0, v9
	s_movk_i32 s0, 0x3fc
	s_movk_i32 s1, 0x5fc
	v_sub_u32_e32 v61, 0, v45
	v_add_u32_e32 v65, 0x1200, v0
	v_sub_u32_e32 v67, 0, v66
	v_sub_u32_e32 v66, 0, v68
	s_waitcnt vmcnt(0) lgkmcnt(2)
	v_mul_f32_e32 v10, v23, v8
	v_fmac_f32_e32 v10, v17, v7
	v_sub_f32_e32 v10, v26, v10
	v_fma_f32 v14, v26, 2.0, -v10
	ds_read_b32 v47, v50
	ds_read_b32 v48, v64
	;; [unrolled: 1-line block ×3, first 2 shown]
	ds_read2_b32 v[27:28], v49 offset0:110 offset1:236
	ds_read2_b32 v[25:26], v51 offset0:106 offset1:232
	ds_read_b32 v49, v63
	ds_read_b32 v51, v60
	ds_read_b32 v52, v0 offset:6552
	s_waitcnt lgkmcnt(0)
	s_barrier
	ds_write2_b32 v53, v14, v10 offset1:2
	v_mul_f32_e32 v10, v24, v8
	v_fmac_f32_e32 v10, v18, v7
	v_sub_f32_e32 v10, v54, v10
	v_fma_f32 v14, v54, 2.0, -v10
	v_lshl_add_u32 v54, v15, 2, 0
	ds_write2_b32 v54, v14, v10 offset1:2
	v_mul_f32_e32 v10, v27, v8
	v_fmac_f32_e32 v10, v12, v7
	v_lshlrev_b32_e32 v15, 1, v38
	v_sub_f32_e32 v10, v55, v10
	v_and_or_b32 v15, v15, s0, v9
	v_fma_f32 v14, v55, 2.0, -v10
	v_lshl_add_u32 v55, v15, 2, 0
	ds_write2_b32 v55, v14, v10 offset1:2
	v_mul_f32_e32 v10, v28, v8
	v_fmac_f32_e32 v10, v13, v7
	v_lshlrev_b32_e32 v15, 1, v39
	v_sub_f32_e32 v10, v57, v10
	v_and_or_b32 v15, v15, s0, v9
	v_fma_f32 v14, v57, 2.0, -v10
	v_lshl_add_u32 v57, v15, 2, 0
	ds_write2_b32 v57, v14, v10 offset1:2
	v_mul_f32_e32 v10, v25, v8
	v_fmac_f32_e32 v10, v5, v7
	s_movk_i32 s0, 0x7fc
	v_lshlrev_b32_e32 v15, 1, v40
	v_sub_f32_e32 v10, v58, v10
	v_and_or_b32 v15, v15, s0, v9
	v_fma_f32 v14, v58, 2.0, -v10
	v_lshl_add_u32 v58, v15, 2, 0
	ds_write2_b32 v58, v14, v10 offset1:2
	v_mul_f32_e32 v14, v26, v8
	v_lshlrev_b32_e32 v10, 1, v41
	v_fmac_f32_e32 v14, v6, v7
	v_sub_f32_e32 v14, v59, v14
	v_and_or_b32 v10, v10, s1, v9
	v_fma_f32 v15, v59, 2.0, -v14
	v_lshl_add_u32 v59, v10, 2, 0
	v_lshlrev_b32_e32 v10, 1, v42
	v_and_or_b32 v9, v10, s0, v9
	v_sub_u32_e32 v10, 0, v56
	v_add_u32_e32 v29, v44, v10
	v_mul_f32_e32 v10, v52, v8
	v_fmac_f32_e32 v10, v46, v7
	v_sub_f32_e32 v56, v62, v10
	v_fma_f32 v31, v62, 2.0, -v56
	v_lshl_add_u32 v62, v9, 2, 0
	ds_write2_b32 v59, v15, v14 offset1:2
	ds_write2_b32 v62, v31, v56 offset1:2
	s_waitcnt lgkmcnt(0)
	s_barrier
	ds_read_b32 v42, v63
	ds_read_b32 v41, v64
	;; [unrolled: 1-line block ×4, first 2 shown]
	v_add_u32_e32 v64, 0x800, v0
	v_add_u32_e32 v63, 0x1600, v0
	ds_read2_b32 v[21:22], v64 offset0:76 offset1:202
	ds_read2_b32 v[19:20], v65 offset0:24 offset1:150
	;; [unrolled: 1-line block ×4, first 2 shown]
	s_movk_i32 s0, 0x54
	v_cmp_gt_u32_e64 s[0:1], s0, v36
                                        ; implicit-def: $vgpr60
	s_and_saveexec_b64 s[6:7], s[0:1]
	s_cbranch_execz .LBB0_15
; %bb.14:
	ds_read_b32 v56, v0 offset:4368
	ds_read_b32 v31, v29
	ds_read_b32 v60, v0 offset:6720
.LBB0_15:
	s_or_b64 exec, exec, s[6:7]
	v_mul_f32_e32 v17, v17, v8
	v_mul_f32_e32 v18, v18, v8
	;; [unrolled: 1-line block ×6, first 2 shown]
	v_fma_f32 v17, v23, v7, -v17
	v_fma_f32 v18, v24, v7, -v18
	;; [unrolled: 1-line block ×6, first 2 shown]
	v_mul_f32_e32 v8, v46, v8
	v_fma_f32 v7, v52, v7, -v8
	v_sub_f32_e32 v8, v50, v17
	v_sub_f32_e32 v18, v51, v18
	v_sub_f32_e32 v12, v49, v12
	v_sub_f32_e32 v13, v48, v13
	v_sub_f32_e32 v5, v47, v5
	v_sub_f32_e32 v6, v16, v6
	v_fma_f32 v17, v50, 2.0, -v8
	v_fma_f32 v23, v51, 2.0, -v18
	;; [unrolled: 1-line block ×6, first 2 shown]
	v_sub_f32_e32 v27, v11, v7
	v_fma_f32 v25, v11, 2.0, -v27
	s_waitcnt lgkmcnt(0)
	s_barrier
	ds_write2_b32 v53, v17, v8 offset1:2
	ds_write2_b32 v54, v23, v18 offset1:2
	;; [unrolled: 1-line block ×7, first 2 shown]
	s_waitcnt lgkmcnt(0)
	s_barrier
	ds_read2_b32 v[16:17], v64 offset0:76 offset1:202
	ds_read2_b32 v[11:12], v65 offset0:24 offset1:150
	v_add_u32_e32 v23, v33, v61
	v_add_u32_e32 v24, v34, v67
	ds_read2_b32 v[7:8], v43 offset0:72 offset1:198
	ds_read2_b32 v[5:6], v63 offset0:20 offset1:146
	v_add_u32_e32 v26, v35, v66
	ds_read_b32 v33, v0
	ds_read_b32 v28, v23
	;; [unrolled: 1-line block ×4, first 2 shown]
                                        ; implicit-def: $vgpr34
	s_and_saveexec_b64 s[6:7], s[0:1]
	s_cbranch_execz .LBB0_17
; %bb.16:
	ds_read_b32 v27, v0 offset:4368
	ds_read_b32 v25, v29
	ds_read_b32 v34, v0 offset:6720
.LBB0_17:
	s_or_b64 exec, exec, s[6:7]
	v_and_b32_e32 v43, 3, v36
	v_lshlrev_b32_e32 v35, 4, v43
	v_and_b32_e32 v73, 3, v37
	global_load_dwordx4 v[61:64], v35, s[12:13] offset:16
	v_lshlrev_b32_e32 v35, 4, v73
	global_load_dwordx4 v[65:68], v35, s[12:13] offset:16
	v_and_b32_e32 v74, 3, v39
	v_lshlrev_b32_e32 v35, 4, v74
	global_load_dwordx4 v[69:72], v35, s[12:13] offset:16
	s_waitcnt vmcnt(0) lgkmcnt(0)
	s_barrier
	v_mul_f32_e32 v54, v16, v62
	v_mul_f32_e32 v55, v11, v64
	v_mul_f32_e32 v52, v17, v66
	v_mul_f32_e32 v53, v12, v68
	v_mul_f32_e32 v50, v7, v62
	v_mul_f32_e32 v51, v5, v64
	v_fmac_f32_e32 v52, v22, v65
	v_fmac_f32_e32 v53, v20, v67
	v_mul_f32_e32 v35, v21, v62
	v_mul_f32_e32 v57, v19, v64
	;; [unrolled: 1-line block ×9, first 2 shown]
	v_fmac_f32_e32 v54, v21, v61
	v_fmac_f32_e32 v55, v19, v63
	v_fmac_f32_e32 v50, v14, v61
	v_fmac_f32_e32 v51, v9, v63
	v_add_f32_e32 v9, v52, v53
	v_fma_f32 v58, v16, v61, -v35
	v_fma_f32 v59, v11, v63, -v57
	;; [unrolled: 1-line block ×6, first 2 shown]
	v_add_f32_e32 v6, v54, v55
	v_add_f32_e32 v8, v44, v52
	;; [unrolled: 1-line block ×3, first 2 shown]
	v_fmac_f32_e32 v44, -0.5, v9
	v_mul_f32_e32 v75, v14, v62
	v_fma_f32 v20, v5, v63, -v76
	v_fmac_f32_e32 v48, v10, v71
	v_add_f32_e32 v5, v45, v54
	v_sub_f32_e32 v10, v22, v57
	v_add_f32_e32 v11, v42, v50
	v_fmac_f32_e32 v45, -0.5, v6
	v_fmac_f32_e32 v42, -0.5, v12
	v_mov_b32_e32 v12, v44
	v_mul_f32_e32 v47, v27, v62
	v_mul_f32_e32 v49, v34, v64
	;; [unrolled: 1-line block ×3, first 2 shown]
	v_fma_f32 v19, v7, v61, -v75
	v_fmac_f32_e32 v46, v15, v69
	v_sub_f32_e32 v7, v58, v59
	v_add_f32_e32 v6, v8, v53
	v_add_f32_e32 v8, v11, v51
	v_mov_b32_e32 v11, v45
	v_fmac_f32_e32 v44, 0x3f5db3d7, v10
	v_fmac_f32_e32 v12, 0xbf5db3d7, v10
	v_lshrrev_b32_e32 v10, 2, v37
	v_fmac_f32_e32 v47, v56, v61
	v_fmac_f32_e32 v49, v60, v63
	v_fma_f32 v15, v34, v63, -v64
	v_add_f32_e32 v34, v46, v48
	v_fmac_f32_e32 v45, 0x3f5db3d7, v7
	v_fmac_f32_e32 v11, 0xbf5db3d7, v7
	v_lshrrev_b32_e32 v7, 2, v36
	v_mul_lo_u32 v10, v10, 12
	v_add_f32_e32 v21, v41, v46
	v_add_f32_e32 v60, v47, v49
	v_fmac_f32_e32 v41, -0.5, v34
	v_mul_u32_u24_e32 v7, 12, v7
	v_mul_f32_e32 v62, v56, v62
	v_sub_f32_e32 v56, v16, v17
	v_add_f32_e32 v35, v31, v47
	v_fmac_f32_e32 v31, -0.5, v60
	v_mov_b32_e32 v60, v41
	v_or_b32_e32 v7, v7, v43
	v_add_f32_e32 v5, v5, v55
	v_fmac_f32_e32 v41, 0x3f5db3d7, v56
	v_fmac_f32_e32 v60, 0xbf5db3d7, v56
	v_lshl_add_u32 v56, v7, 2, 0
	ds_write2_b32 v56, v5, v11 offset1:4
	ds_write_b32 v56, v45 offset:32
	v_or_b32_e32 v5, v10, v73
	v_lshrrev_b32_e32 v7, 2, v38
	v_lshl_add_u32 v45, v5, 2, 0
	v_mul_lo_u32 v7, v7, 12
	ds_write2_b32 v45, v6, v12 offset1:4
	ds_write_b32 v45, v44 offset:32
	v_lshrrev_b32_e32 v6, 2, v39
	v_mul_lo_u32 v6, v6, 12
	v_fma_f32 v14, v27, v61, -v62
	v_sub_f32_e32 v61, v14, v15
	v_add_f32_e32 v9, v21, v48
	v_add_f32_e32 v21, v35, v49
	v_mov_b32_e32 v35, v31
	v_or_b32_e32 v5, v7, v43
	v_sub_f32_e32 v27, v19, v20
	v_mov_b32_e32 v34, v42
	v_fmac_f32_e32 v35, 0xbf5db3d7, v61
	v_fmac_f32_e32 v31, 0x3f5db3d7, v61
	v_lshl_add_u32 v61, v5, 2, 0
	v_or_b32_e32 v5, v6, v74
	v_fmac_f32_e32 v34, 0xbf5db3d7, v27
	v_lshl_add_u32 v62, v5, 2, 0
	v_fmac_f32_e32 v42, 0x3f5db3d7, v27
	ds_write2_b32 v61, v8, v34 offset1:4
	ds_write_b32 v61, v42 offset:32
	ds_write2_b32 v62, v9, v60 offset1:4
	ds_write_b32 v62, v41 offset:32
	v_lshrrev_b32_e32 v60, 2, v40
	s_and_saveexec_b64 s[6:7], s[0:1]
	s_cbranch_execz .LBB0_19
; %bb.18:
	v_mul_lo_u32 v5, v60, 12
	v_or_b32_e32 v5, v5, v43
	v_lshl_add_u32 v5, v5, 2, 0
	ds_write2_b32 v5, v21, v35 offset1:4
	ds_write_b32 v5, v31 offset:32
.LBB0_19:
	s_or_b64 exec, exec, s[6:7]
	v_add_u32_e32 v5, 0x800, v0
	s_waitcnt lgkmcnt(0)
	s_barrier
	ds_read2_b32 v[9:10], v5 offset0:76 offset1:202
	v_add_u32_e32 v5, 0x1200, v0
	ds_read2_b32 v[11:12], v5 offset0:24 offset1:150
	v_add_u32_e32 v5, 0xc00, v0
	v_add_u32_e32 v7, 0x1600, v0
	ds_read2_b32 v[5:6], v5 offset0:72 offset1:198
	ds_read2_b32 v[7:8], v7 offset0:20 offset1:146
	ds_read_b32 v42, v0
	ds_read_b32 v41, v23
	;; [unrolled: 1-line block ×4, first 2 shown]
	s_and_saveexec_b64 s[6:7], s[0:1]
	s_cbranch_execz .LBB0_21
; %bb.20:
	ds_read_b32 v35, v0 offset:4368
	ds_read_b32 v21, v29
	ds_read_b32 v31, v0 offset:6720
.LBB0_21:
	s_or_b64 exec, exec, s[6:7]
	v_add_f32_e32 v44, v33, v58
	v_add_f32_e32 v63, v44, v59
	;; [unrolled: 1-line block ×3, first 2 shown]
	v_fmac_f32_e32 v33, -0.5, v44
	v_sub_f32_e32 v44, v54, v55
	v_mov_b32_e32 v54, v33
	v_fmac_f32_e32 v54, 0x3f5db3d7, v44
	v_fmac_f32_e32 v33, 0xbf5db3d7, v44
	v_add_f32_e32 v44, v28, v22
	v_add_f32_e32 v22, v22, v57
	v_fmac_f32_e32 v28, -0.5, v22
	v_sub_f32_e32 v22, v52, v53
	v_mov_b32_e32 v52, v28
	v_fmac_f32_e32 v52, 0x3f5db3d7, v22
	v_fmac_f32_e32 v28, 0xbf5db3d7, v22
	v_add_f32_e32 v22, v18, v19
	v_add_f32_e32 v19, v19, v20
	v_fmac_f32_e32 v18, -0.5, v19
	v_add_f32_e32 v53, v22, v20
	v_sub_f32_e32 v19, v50, v51
	v_mov_b32_e32 v20, v18
	v_fmac_f32_e32 v20, 0x3f5db3d7, v19
	v_fmac_f32_e32 v18, 0xbf5db3d7, v19
	v_add_f32_e32 v19, v13, v16
	v_add_f32_e32 v16, v16, v17
	v_fmac_f32_e32 v13, -0.5, v16
	v_add_f32_e32 v19, v19, v17
	;; [unrolled: 8-line block ×3, first 2 shown]
	v_sub_f32_e32 v14, v47, v49
	v_mov_b32_e32 v44, v25
	v_add_f32_e32 v22, v16, v15
	v_fmac_f32_e32 v44, 0x3f5db3d7, v14
	v_fmac_f32_e32 v25, 0xbf5db3d7, v14
	s_waitcnt lgkmcnt(0)
	s_barrier
	ds_write2_b32 v56, v63, v54 offset1:4
	ds_write_b32 v56, v33 offset:32
	ds_write2_b32 v45, v55, v52 offset1:4
	ds_write_b32 v45, v28 offset:32
	;; [unrolled: 2-line block ×4, first 2 shown]
	s_and_saveexec_b64 s[6:7], s[0:1]
	s_cbranch_execz .LBB0_23
; %bb.22:
	v_mul_lo_u32 v13, v60, 12
	v_or_b32_e32 v13, v13, v43
	v_lshl_add_u32 v13, v13, 2, 0
	ds_write2_b32 v13, v22, v44 offset1:4
	ds_write_b32 v13, v25 offset:32
.LBB0_23:
	s_or_b64 exec, exec, s[6:7]
	v_add_u32_e32 v13, 0x800, v0
	s_waitcnt lgkmcnt(0)
	s_barrier
	ds_read2_b32 v[17:18], v13 offset0:76 offset1:202
	v_add_u32_e32 v13, 0x1200, v0
	ds_read2_b32 v[19:20], v13 offset0:24 offset1:150
	v_add_u32_e32 v13, 0xc00, v0
	v_add_u32_e32 v15, 0x1600, v0
	ds_read2_b32 v[13:14], v13 offset0:72 offset1:198
	ds_read2_b32 v[15:16], v15 offset0:20 offset1:146
	ds_read_b32 v43, v0
	ds_read_b32 v33, v23
	;; [unrolled: 1-line block ×4, first 2 shown]
	s_and_saveexec_b64 s[6:7], s[0:1]
	s_cbranch_execz .LBB0_25
; %bb.24:
	ds_read_b32 v44, v0 offset:4368
	ds_read_b32 v22, v29
	ds_read_b32 v25, v0 offset:6720
.LBB0_25:
	s_or_b64 exec, exec, s[6:7]
	s_movk_i32 s6, 0xab
	v_mul_lo_u16_sdwa v45, v36, s6 dst_sel:DWORD dst_unused:UNUSED_PAD src0_sel:BYTE_0 src1_sel:DWORD
	v_mul_lo_u16_sdwa v47, v37, s6 dst_sel:DWORD dst_unused:UNUSED_PAD src0_sel:BYTE_0 src1_sel:DWORD
	v_lshrrev_b16_e32 v72, 11, v45
	v_lshrrev_b16_e32 v74, 11, v47
	v_mul_lo_u16_e32 v45, 12, v72
	v_mul_lo_u16_e32 v47, 12, v74
	v_sub_u16_e32 v73, v36, v45
	v_mov_b32_e32 v45, 4
	v_sub_u16_e32 v75, v37, v47
	v_lshlrev_b32_sdwa v46, v45, v73 dst_sel:DWORD dst_unused:UNUSED_PAD src0_sel:DWORD src1_sel:BYTE_0
	v_lshlrev_b32_sdwa v45, v45, v75 dst_sel:DWORD dst_unused:UNUSED_PAD src0_sel:DWORD src1_sel:BYTE_0
	s_mov_b32 s6, 0xaaab
	global_load_dwordx4 v[52:55], v46, s[12:13] offset:80
	global_load_dwordx4 v[56:59], v45, s[12:13] offset:80
	v_mul_u32_u24_sdwa v45, v38, s6 dst_sel:DWORD dst_unused:UNUSED_PAD src0_sel:WORD_0 src1_sel:DWORD
	v_lshrrev_b32_e32 v76, 19, v45
	v_mul_lo_u16_e32 v45, 12, v76
	v_sub_u16_e32 v77, v38, v45
	v_mul_u32_u24_sdwa v45, v39, s6 dst_sel:DWORD dst_unused:UNUSED_PAD src0_sel:WORD_0 src1_sel:DWORD
	v_lshrrev_b32_e32 v78, 19, v45
	v_mul_lo_u16_e32 v45, 12, v78
	v_lshlrev_b32_e32 v38, 4, v77
	v_sub_u16_e32 v79, v39, v45
	global_load_dwordx4 v[60:63], v38, s[12:13] offset:80
	v_lshlrev_b32_e32 v38, 4, v79
	global_load_dwordx4 v[64:67], v38, s[12:13] offset:80
	v_mul_u32_u24_sdwa v38, v40, s6 dst_sel:DWORD dst_unused:UNUSED_PAD src0_sel:WORD_0 src1_sel:DWORD
	v_lshrrev_b32_e32 v80, 19, v38
	v_mul_lo_u16_e32 v38, 12, v80
	v_sub_u16_e32 v81, v40, v38
	v_lshlrev_b32_e32 v38, 4, v81
	global_load_dwordx4 v[68:71], v38, s[12:13] offset:80
	v_sub_u32_e32 v39, 0, v32
	s_waitcnt vmcnt(0) lgkmcnt(0)
	s_barrier
	v_mul_f32_e32 v50, v17, v53
	v_mul_f32_e32 v51, v19, v55
	;; [unrolled: 1-line block ×4, first 2 shown]
	v_fmac_f32_e32 v50, v9, v52
	v_fmac_f32_e32 v51, v11, v54
	v_mul_f32_e32 v53, v9, v53
	v_mul_f32_e32 v55, v11, v55
	;; [unrolled: 1-line block ×3, first 2 shown]
	v_fmac_f32_e32 v48, v10, v56
	v_fmac_f32_e32 v49, v12, v58
	v_mul_f32_e32 v47, v15, v63
	v_mul_f32_e32 v63, v7, v63
	;; [unrolled: 1-line block ×3, first 2 shown]
	v_add_f32_e32 v12, v50, v51
	v_mul_f32_e32 v46, v13, v61
	v_mul_f32_e32 v61, v5, v61
	;; [unrolled: 1-line block ×5, first 2 shown]
	v_fma_f32 v17, v17, v52, -v53
	v_fma_f32 v19, v19, v54, -v55
	v_fmac_f32_e32 v47, v7, v62
	v_fma_f32 v7, v15, v62, -v63
	v_fmac_f32_e32 v45, v8, v66
	v_add_f32_e32 v8, v42, v50
	v_add_f32_e32 v15, v48, v49
	v_fmac_f32_e32 v42, -0.5, v12
	v_mul_f32_e32 v57, v10, v57
	v_fmac_f32_e32 v46, v5, v60
	v_fma_f32 v9, v13, v60, -v61
	v_fma_f32 v5, v14, v64, -v65
	v_sub_f32_e32 v13, v17, v19
	v_add_f32_e32 v14, v41, v48
	v_fmac_f32_e32 v41, -0.5, v15
	v_mov_b32_e32 v15, v42
	v_fma_f32 v10, v18, v56, -v57
	v_fma_f32 v11, v20, v58, -v59
	v_add_f32_e32 v18, v34, v46
	v_fmac_f32_e32 v42, 0x3f5db3d7, v13
	v_fmac_f32_e32 v15, 0xbf5db3d7, v13
	v_add_f32_e32 v13, v46, v47
	v_mul_f32_e32 v38, v25, v71
	v_fmac_f32_e32 v40, v6, v64
	v_fma_f32 v6, v16, v66, -v67
	v_sub_f32_e32 v16, v10, v11
	v_add_f32_e32 v12, v14, v49
	v_add_f32_e32 v14, v18, v47
	v_mov_b32_e32 v18, v41
	v_fmac_f32_e32 v34, -0.5, v13
	v_mul_f32_e32 v71, v31, v71
	v_fmac_f32_e32 v38, v31, v70
	v_fmac_f32_e32 v41, 0x3f5db3d7, v16
	v_fmac_f32_e32 v18, 0xbf5db3d7, v16
	v_sub_f32_e32 v13, v9, v7
	v_mov_b32_e32 v16, v34
	v_add_f32_e32 v31, v40, v45
	v_mul_f32_e32 v32, v44, v69
	v_fmac_f32_e32 v16, 0xbf5db3d7, v13
	v_fmac_f32_e32 v34, 0x3f5db3d7, v13
	v_add_f32_e32 v13, v27, v40
	v_fmac_f32_e32 v27, -0.5, v31
	v_mul_f32_e32 v69, v35, v69
	v_fmac_f32_e32 v32, v35, v68
	v_sub_f32_e32 v31, v5, v6
	v_mov_b32_e32 v35, v27
	v_mov_b32_e32 v52, 2
	v_fma_f32 v20, v44, v68, -v69
	v_fmac_f32_e32 v35, 0xbf5db3d7, v31
	v_fmac_f32_e32 v27, 0x3f5db3d7, v31
	v_mul_u32_u24_e32 v31, 0x90, v72
	v_lshlrev_b32_sdwa v44, v52, v73 dst_sel:DWORD dst_unused:UNUSED_PAD src0_sel:DWORD src1_sel:BYTE_0
	v_add_f32_e32 v8, v8, v51
	v_add3_u32 v44, 0, v31, v44
	ds_write2_b32 v44, v8, v15 offset1:12
	ds_write_b32 v44, v42 offset:96
	v_mul_u32_u24_e32 v8, 0x90, v74
	v_lshlrev_b32_sdwa v15, v52, v75 dst_sel:DWORD dst_unused:UNUSED_PAD src0_sel:DWORD src1_sel:BYTE_0
	v_add3_u32 v42, 0, v8, v15
	ds_write2_b32 v42, v12, v18 offset1:12
	ds_write_b32 v42, v41 offset:96
	v_mul_u32_u24_e32 v8, 0x90, v76
	v_lshlrev_b32_e32 v12, 2, v77
	v_add3_u32 v41, 0, v8, v12
	v_mul_u32_u24_e32 v8, 0x90, v78
	v_lshlrev_b32_e32 v12, 2, v79
	v_add_f32_e32 v13, v13, v45
	v_add3_u32 v52, 0, v8, v12
	v_fma_f32 v25, v25, v70, -v71
	ds_write2_b32 v41, v14, v16 offset1:12
	ds_write_b32 v41, v34 offset:96
	ds_write2_b32 v52, v13, v35 offset1:12
	ds_write_b32 v52, v27 offset:96
	v_mul_lo_u16_e32 v34, 36, v80
	v_lshlrev_b32_e32 v35, 2, v81
	s_and_saveexec_b64 s[6:7], s[0:1]
	s_cbranch_execz .LBB0_27
; %bb.26:
	v_add_f32_e32 v8, v32, v38
	v_fma_f32 v8, -0.5, v8, v21
	v_sub_f32_e32 v12, v20, v25
	v_mov_b32_e32 v13, v8
	v_fmac_f32_e32 v13, 0x3f5db3d7, v12
	v_fmac_f32_e32 v8, 0xbf5db3d7, v12
	v_add_f32_e32 v12, v21, v32
	v_lshlrev_b32_e32 v14, 2, v34
	v_add_f32_e32 v12, v12, v38
	v_add3_u32 v14, 0, v35, v14
	ds_write2_b32 v14, v12, v8 offset1:12
	ds_write_b32 v14, v13 offset:96
.LBB0_27:
	s_or_b64 exec, exec, s[6:7]
	v_add_f32_e32 v8, v43, v17
	v_add_f32_e32 v53, v8, v19
	v_add_f32_e32 v8, v17, v19
	v_fmac_f32_e32 v43, -0.5, v8
	v_sub_f32_e32 v8, v50, v51
	v_mov_b32_e32 v50, v43
	v_fmac_f32_e32 v50, 0x3f5db3d7, v8
	v_fmac_f32_e32 v43, 0xbf5db3d7, v8
	v_add_f32_e32 v8, v33, v10
	v_add_f32_e32 v51, v8, v11
	v_add_f32_e32 v8, v10, v11
	v_fmac_f32_e32 v33, -0.5, v8
	v_sub_f32_e32 v8, v48, v49
	v_mov_b32_e32 v48, v33
	v_fmac_f32_e32 v48, 0x3f5db3d7, v8
	v_fmac_f32_e32 v33, 0xbf5db3d7, v8
	;; [unrolled: 8-line block ×3, first 2 shown]
	v_add_f32_e32 v7, v26, v5
	v_add_f32_e32 v5, v5, v6
	v_fmac_f32_e32 v26, -0.5, v5
	v_sub_f32_e32 v5, v40, v45
	v_mov_b32_e32 v40, v26
	v_add_u32_e32 v15, 0xc00, v0
	v_add_u32_e32 v16, 0x1000, v0
	;; [unrolled: 1-line block ×4, first 2 shown]
	v_add_f32_e32 v47, v7, v6
	v_fmac_f32_e32 v40, 0x3f5db3d7, v5
	v_fmac_f32_e32 v26, 0xbf5db3d7, v5
	s_waitcnt lgkmcnt(0)
	s_barrier
	ds_read_b32 v19, v0
	v_add_u32_e32 v13, v30, v39
	ds_read_b32 v30, v29
	ds_read_b32 v27, v13
	ds_read2_b32 v[5:6], v15 offset0:114 offset1:240
	ds_read2_b32 v[7:8], v16 offset0:110 offset1:236
	;; [unrolled: 1-line block ×4, first 2 shown]
	ds_read_b32 v31, v24
	ds_read_b32 v14, v23
	ds_read_b32 v21, v0 offset:6552
	s_waitcnt lgkmcnt(0)
	s_barrier
	ds_write2_b32 v44, v53, v50 offset1:12
	ds_write_b32 v44, v43 offset:96
	ds_write2_b32 v42, v51, v48 offset1:12
	ds_write_b32 v42, v33 offset:96
	ds_write2_b32 v41, v49, v46 offset1:12
	ds_write_b32 v41, v28 offset:96
	ds_write2_b32 v52, v47, v40 offset1:12
	ds_write_b32 v52, v26 offset:96
	s_and_saveexec_b64 s[6:7], s[0:1]
	s_cbranch_execz .LBB0_29
; %bb.28:
	v_add_f32_e32 v26, v22, v20
	v_add_f32_e32 v20, v20, v25
	v_fmac_f32_e32 v22, -0.5, v20
	v_add_f32_e32 v26, v26, v25
	v_sub_f32_e32 v20, v32, v38
	v_mov_b32_e32 v25, v22
	v_fmac_f32_e32 v25, 0x3f5db3d7, v20
	v_fmac_f32_e32 v22, 0xbf5db3d7, v20
	v_lshlrev_b32_e32 v20, 2, v34
	v_add3_u32 v20, 0, v35, v20
	ds_write2_b32 v20, v26, v25 offset1:12
	ds_write_b32 v20, v22 offset:96
.LBB0_29:
	s_or_b64 exec, exec, s[6:7]
	v_mov_b32_e32 v20, 57
	v_mul_lo_u16_sdwa v22, v36, v20 dst_sel:DWORD dst_unused:UNUSED_PAD src0_sel:BYTE_0 src1_sel:DWORD
	v_lshrrev_b16_e32 v22, 11, v22
	v_mul_lo_u16_e32 v25, 36, v22
	v_mul_lo_u16_sdwa v20, v37, v20 dst_sel:DWORD dst_unused:UNUSED_PAD src0_sel:BYTE_0 src1_sel:DWORD
	v_sub_u16_e32 v28, v36, v25
	v_mov_b32_e32 v25, 6
	v_lshrrev_b16_e32 v20, 11, v20
	v_mul_u32_u24_sdwa v26, v28, v25 dst_sel:DWORD dst_unused:UNUSED_PAD src0_sel:BYTE_0 src1_sel:DWORD
	v_mul_lo_u16_e32 v46, 36, v20
	v_lshlrev_b32_e32 v26, 3, v26
	v_sub_u16_e32 v64, v37, v46
	s_waitcnt lgkmcnt(0)
	s_barrier
	global_load_dwordx4 v[32:35], v26, s[12:13] offset:272
	global_load_dwordx4 v[38:41], v26, s[12:13] offset:288
	;; [unrolled: 1-line block ×3, first 2 shown]
	v_mul_u32_u24_sdwa v25, v64, v25 dst_sel:DWORD dst_unused:UNUSED_PAD src0_sel:BYTE_0 src1_sel:DWORD
	v_lshlrev_b32_e32 v25, 3, v25
	global_load_dwordx4 v[46:49], v25, s[12:13] offset:272
	global_load_dwordx4 v[50:53], v25, s[12:13] offset:288
	;; [unrolled: 1-line block ×3, first 2 shown]
	ds_read_b32 v65, v0
	ds_read_b32 v66, v29
	ds_read2_b32 v[25:26], v15 offset0:114 offset1:240
	ds_read2_b32 v[58:59], v16 offset0:110 offset1:236
	ds_read_b32 v67, v13
	ds_read_b32 v68, v24
	ds_read2_b32 v[60:61], v17 offset0:106 offset1:232
	ds_read2_b32 v[62:63], v18 offset0:2 offset1:254
	ds_read_b32 v69, v23
	ds_read_b32 v70, v0 offset:6552
	s_mov_b32 s0, 0xbf5ff5aa
	s_mov_b32 s1, 0x3f3bfb3b
	;; [unrolled: 1-line block ×4, first 2 shown]
	s_waitcnt vmcnt(0) lgkmcnt(0)
	s_barrier
	v_mul_f32_e32 v71, v68, v33
	v_mul_f32_e32 v33, v31, v33
	;; [unrolled: 1-line block ×13, first 2 shown]
	v_fmac_f32_e32 v71, v31, v32
	v_mul_f32_e32 v31, v11, v47
	v_fma_f32 v32, v68, v32, -v33
	v_mul_f32_e32 v33, v63, v49
	v_fmac_f32_e32 v72, v30, v34
	v_mul_f32_e32 v30, v12, v49
	v_fma_f32 v34, v66, v34, -v35
	v_mul_f32_e32 v35, v25, v51
	v_mul_f32_e32 v47, v5, v51
	v_fmac_f32_e32 v75, v8, v42
	v_fmac_f32_e32 v76, v10, v44
	;; [unrolled: 1-line block ×3, first 2 shown]
	v_fma_f32 v38, v67, v38, -v39
	v_mul_f32_e32 v39, v70, v57
	v_fmac_f32_e32 v74, v6, v40
	v_fma_f32 v6, v26, v40, -v41
	v_mul_f32_e32 v26, v21, v57
	v_fma_f32 v8, v59, v42, -v43
	v_fma_f32 v10, v61, v44, -v45
	v_fmac_f32_e32 v33, v12, v48
	v_fma_f32 v12, v63, v48, -v30
	v_fmac_f32_e32 v35, v5, v50
	v_fma_f32 v5, v25, v50, -v47
	v_add_f32_e32 v25, v71, v76
	v_add_f32_e32 v30, v72, v75
	v_fmac_f32_e32 v77, v11, v46
	v_fma_f32 v11, v62, v46, -v31
	v_fmac_f32_e32 v39, v21, v56
	v_fma_f32 v21, v70, v56, -v26
	v_add_f32_e32 v26, v32, v10
	v_add_f32_e32 v31, v34, v8
	v_sub_f32_e32 v8, v34, v8
	v_add_f32_e32 v34, v73, v74
	v_add_f32_e32 v40, v38, v6
	v_sub_f32_e32 v6, v6, v38
	v_add_f32_e32 v38, v30, v25
	v_mul_f32_e32 v49, v58, v53
	v_mul_f32_e32 v51, v7, v53
	;; [unrolled: 1-line block ×4, first 2 shown]
	v_add_f32_e32 v42, v31, v26
	v_sub_f32_e32 v43, v30, v25
	v_sub_f32_e32 v25, v25, v34
	;; [unrolled: 1-line block ×3, first 2 shown]
	v_add_f32_e32 v34, v34, v38
	v_fmac_f32_e32 v53, v9, v54
	v_fma_f32 v9, v60, v54, -v27
	v_sub_f32_e32 v27, v71, v76
	v_sub_f32_e32 v10, v32, v10
	;; [unrolled: 1-line block ×4, first 2 shown]
	v_add_f32_e32 v38, v40, v42
	v_add_f32_e32 v19, v19, v34
	v_fmac_f32_e32 v49, v7, v52
	v_fma_f32 v7, v58, v52, -v51
	v_sub_f32_e32 v44, v31, v26
	v_sub_f32_e32 v26, v26, v40
	v_sub_f32_e32 v31, v40, v31
	v_add_f32_e32 v45, v41, v32
	v_add_f32_e32 v46, v6, v8
	v_sub_f32_e32 v47, v41, v32
	v_sub_f32_e32 v48, v6, v8
	;; [unrolled: 1-line block ×3, first 2 shown]
	v_add_f32_e32 v40, v65, v38
	v_mov_b32_e32 v51, v19
	v_sub_f32_e32 v41, v27, v41
	v_sub_f32_e32 v6, v10, v6
	;; [unrolled: 1-line block ×3, first 2 shown]
	v_add_f32_e32 v10, v46, v10
	v_mul_f32_e32 v25, 0x3f4a47b2, v25
	v_mul_f32_e32 v26, 0x3f4a47b2, v26
	;; [unrolled: 1-line block ×6, first 2 shown]
	v_fmac_f32_e32 v51, 0xbf955555, v34
	v_mov_b32_e32 v34, v40
	v_add_f32_e32 v27, v45, v27
	v_mul_f32_e32 v45, 0x3d64c772, v31
	v_mul_f32_e32 v50, 0xbf5ff5aa, v8
	v_fmac_f32_e32 v34, 0xbf955555, v38
	v_fma_f32 v38, v43, s1, -v42
	v_fma_f32 v43, v43, s6, -v25
	v_fmac_f32_e32 v25, 0x3d64c772, v30
	v_fma_f32 v30, v44, s6, -v26
	v_fmac_f32_e32 v26, 0x3d64c772, v31
	v_fma_f32 v31, v32, s0, -v46
	v_fma_f32 v8, v8, s0, -v47
	;; [unrolled: 1-line block ×4, first 2 shown]
	v_fmac_f32_e32 v47, 0xbeae86e6, v6
	v_fma_f32 v6, v6, s7, -v50
	v_add_f32_e32 v38, v38, v51
	v_add_f32_e32 v30, v30, v34
	v_fmac_f32_e32 v8, 0xbee1c552, v10
	v_fmac_f32_e32 v32, 0xbee1c552, v27
	;; [unrolled: 1-line block ×3, first 2 shown]
	v_add_f32_e32 v41, v42, v34
	v_add_f32_e32 v42, v43, v51
	v_fmac_f32_e32 v31, 0xbee1c552, v27
	v_fmac_f32_e32 v6, 0xbee1c552, v10
	v_sub_f32_e32 v43, v30, v32
	v_sub_f32_e32 v44, v38, v8
	v_add_f32_e32 v8, v8, v38
	v_add_f32_e32 v30, v32, v30
	;; [unrolled: 1-line block ×4, first 2 shown]
	v_sub_f32_e32 v11, v11, v21
	v_add_f32_e32 v21, v33, v53
	v_add_f32_e32 v26, v26, v34
	v_fmac_f32_e32 v46, 0xbee1c552, v27
	v_add_f32_e32 v34, v6, v42
	v_add_f32_e32 v45, v31, v41
	v_sub_f32_e32 v31, v41, v31
	v_sub_f32_e32 v6, v42, v6
	v_add_f32_e32 v41, v12, v9
	v_sub_f32_e32 v9, v12, v9
	v_add_f32_e32 v12, v35, v49
	v_add_f32_e32 v42, v5, v7
	v_sub_f32_e32 v5, v7, v5
	v_add_f32_e32 v7, v21, v32
	v_add_f32_e32 v25, v25, v51
	v_fmac_f32_e32 v47, 0xbee1c552, v10
	v_sub_f32_e32 v27, v26, v46
	v_add_f32_e32 v26, v46, v26
	v_add_f32_e32 v46, v41, v38
	;; [unrolled: 1-line block ×4, first 2 shown]
	v_sub_f32_e32 v25, v25, v47
	v_sub_f32_e32 v33, v33, v53
	;; [unrolled: 1-line block ×6, first 2 shown]
	v_add_f32_e32 v12, v42, v46
	v_add_f32_e32 v14, v14, v7
	v_sub_f32_e32 v48, v41, v38
	v_sub_f32_e32 v38, v38, v42
	;; [unrolled: 1-line block ×3, first 2 shown]
	v_add_f32_e32 v50, v5, v9
	v_sub_f32_e32 v51, v35, v33
	v_sub_f32_e32 v52, v5, v9
	v_add_f32_e32 v42, v69, v12
	v_mov_b32_e32 v54, v14
	v_sub_f32_e32 v5, v11, v5
	v_sub_f32_e32 v9, v9, v11
	v_add_f32_e32 v11, v50, v11
	v_mul_f32_e32 v46, 0x3d64c772, v21
	v_mul_f32_e32 v50, 0x3f08b237, v51
	;; [unrolled: 1-line block ×3, first 2 shown]
	v_fmac_f32_e32 v54, 0xbf955555, v7
	v_mov_b32_e32 v7, v42
	v_sub_f32_e32 v39, v77, v39
	v_add_f32_e32 v49, v35, v33
	v_mul_f32_e32 v53, 0xbf5ff5aa, v9
	v_fmac_f32_e32 v7, 0xbf955555, v12
	v_fma_f32 v12, v47, s1, -v46
	v_fma_f32 v9, v9, s0, -v51
	v_sub_f32_e32 v35, v39, v35
	v_sub_f32_e32 v33, v33, v39
	v_add_f32_e32 v39, v49, v39
	v_mul_f32_e32 v32, 0x3f4a47b2, v32
	v_mul_f32_e32 v38, 0x3f4a47b2, v38
	;; [unrolled: 1-line block ×3, first 2 shown]
	v_add_f32_e32 v12, v12, v54
	v_fmac_f32_e32 v9, 0xbee1c552, v11
	v_fma_f32 v46, v48, s1, -v49
	v_fma_f32 v47, v47, s6, -v32
	v_fmac_f32_e32 v32, 0x3d64c772, v21
	v_fma_f32 v21, v48, s6, -v38
	v_sub_f32_e32 v48, v12, v9
	v_add_f32_e32 v9, v9, v12
	v_mul_u32_u24_e32 v12, 0x3f0, v22
	v_mov_b32_e32 v22, 2
	v_mul_f32_e32 v52, 0xbf5ff5aa, v33
	v_lshlrev_b32_sdwa v28, v22, v28 dst_sel:DWORD dst_unused:UNUSED_PAD src0_sel:DWORD src1_sel:BYTE_0
	v_fmac_f32_e32 v38, 0x3d64c772, v41
	v_fma_f32 v33, v33, s0, -v50
	v_fmac_f32_e32 v50, 0xbeae86e6, v35
	v_fmac_f32_e32 v51, 0xbeae86e6, v5
	v_fma_f32 v35, v35, s7, -v52
	v_fma_f32 v5, v5, s7, -v53
	v_add3_u32 v28, 0, v12, v28
	v_add_f32_e32 v32, v32, v54
	v_add_f32_e32 v38, v38, v7
	;; [unrolled: 1-line block ×5, first 2 shown]
	v_fmac_f32_e32 v51, 0xbee1c552, v11
	v_fmac_f32_e32 v35, 0xbee1c552, v39
	;; [unrolled: 1-line block ×3, first 2 shown]
	ds_write2_b32 v28, v19, v10 offset1:36
	ds_write2_b32 v28, v34, v44 offset0:72 offset1:108
	ds_write2_b32 v28, v8, v6 offset0:144 offset1:180
	ds_write_b32 v28, v25 offset:864
	v_mul_u32_u24_e32 v6, 0x3f0, v20
	v_lshlrev_b32_sdwa v8, v22, v64 dst_sel:DWORD dst_unused:UNUSED_PAD src0_sel:DWORD src1_sel:BYTE_0
	v_fmac_f32_e32 v50, 0xbee1c552, v39
	v_fmac_f32_e32 v33, 0xbee1c552, v39
	v_add_f32_e32 v11, v51, v32
	v_add_f32_e32 v39, v5, v46
	v_sub_f32_e32 v47, v7, v35
	v_sub_f32_e32 v5, v46, v5
	v_add_f32_e32 v35, v35, v7
	v_sub_f32_e32 v7, v32, v51
	v_add3_u32 v20, 0, v6, v8
	ds_write2_b32 v20, v14, v11 offset1:36
	ds_write2_b32 v20, v39, v48 offset0:72 offset1:108
	ds_write2_b32 v20, v9, v5 offset0:144 offset1:180
	ds_write_b32 v20, v7 offset:864
	s_waitcnt lgkmcnt(0)
	s_barrier
	ds_read_b32 v14, v0
	ds_read2_b32 v[7:8], v15 offset0:114 offset1:240
	ds_read2_b32 v[5:6], v16 offset0:110 offset1:236
	;; [unrolled: 1-line block ×4, first 2 shown]
	ds_read_b32 v15, v29
	ds_read_b32 v16, v13
	ds_read_b32 v17, v24
	ds_read_b32 v18, v23
	ds_read_b32 v19, v0 offset:6552
	v_sub_f32_e32 v21, v38, v50
	v_add_f32_e32 v49, v33, v41
	v_sub_f32_e32 v33, v41, v33
	v_add_f32_e32 v32, v50, v38
	s_waitcnt lgkmcnt(0)
	s_barrier
	ds_write2_b32 v28, v40, v27 offset1:36
	ds_write2_b32 v28, v43, v45 offset0:72 offset1:108
	ds_write2_b32 v28, v31, v30 offset0:144 offset1:180
	ds_write_b32 v28, v26 offset:864
	ds_write2_b32 v20, v42, v21 offset1:36
	ds_write2_b32 v20, v47, v49 offset0:72 offset1:108
	ds_write2_b32 v20, v33, v35 offset0:144 offset1:180
	ds_write_b32 v20, v32 offset:864
	s_waitcnt lgkmcnt(0)
	s_barrier
	s_and_saveexec_b64 s[8:9], vcc
	s_cbranch_execz .LBB0_31
; %bb.30:
	v_mul_i32_i24_e32 v20, 6, v37
	v_mov_b32_e32 v21, 0
	v_lshlrev_b64 v[20:21], 3, v[20:21]
	v_mov_b32_e32 v22, s13
	v_add_co_u32_e32 v20, vcc, s12, v20
	v_addc_co_u32_e32 v21, vcc, v22, v21, vcc
	global_load_dwordx4 v[25:28], v[20:21], off offset:2000
	global_load_dwordx4 v[30:33], v[20:21], off offset:2032
	;; [unrolled: 1-line block ×3, first 2 shown]
	v_mul_lo_u32 v45, s5, v3
	v_mul_lo_u32 v46, s4, v4
	v_mad_u64_u32 v[3:4], s[4:5], s4, v3, 0
	v_mul_u32_u24_e32 v42, 6, v36
	v_add_u32_e32 v20, 0x5e0, v0
	v_add_u32_e32 v21, 0x1000, v0
	;; [unrolled: 1-line block ×4, first 2 shown]
	v_lshlrev_b32_e32 v47, 3, v42
	ds_read_b32 v55, v23
	ds_read_b32 v56, v24
	;; [unrolled: 1-line block ×3, first 2 shown]
	ds_read_b32 v24, v0 offset:6552
	ds_read_b32 v0, v0
	ds_read2_b32 v[34:35], v20 offset0:2 offset1:254
	ds_read2_b32 v[49:50], v21 offset0:110 offset1:236
	;; [unrolled: 1-line block ×4, first 2 shown]
	global_load_dwordx4 v[20:23], v47, s[12:13] offset:2032
	global_load_dwordx4 v[41:44], v47, s[12:13] offset:2016
	v_add3_u32 v4, v4, v46, v45
	global_load_dwordx4 v[45:48], v47, s[12:13] offset:2000
	ds_read_b32 v29, v29
	s_mov_b32 s4, 0x20820821
	s_movk_i32 s5, 0xfc
	v_lshlrev_b64 v[3:4], 3, v[3:4]
	s_waitcnt vmcnt(5)
	v_mul_f32_e32 v57, v11, v25
	s_waitcnt vmcnt(4)
	v_mul_f32_e32 v58, v19, v32
	;; [unrolled: 2-line block ×3, first 2 shown]
	v_mul_f32_e32 v60, v7, v37
	v_mul_f32_e32 v61, v12, v27
	;; [unrolled: 1-line block ×9, first 2 shown]
	s_waitcnt lgkmcnt(4)
	v_fmac_f32_e32 v57, v34, v26
	v_fmac_f32_e32 v58, v24, v33
	s_waitcnt lgkmcnt(3)
	v_fmac_f32_e32 v59, v49, v40
	s_waitcnt lgkmcnt(2)
	v_fmac_f32_e32 v60, v51, v38
	v_fmac_f32_e32 v61, v35, v28
	s_waitcnt lgkmcnt(1)
	v_fmac_f32_e32 v62, v53, v31
	v_fma_f32 v24, v24, v32, -v19
	v_fma_f32 v25, v34, v25, -v11
	;; [unrolled: 1-line block ×6, first 2 shown]
	v_sub_f32_e32 v27, v57, v58
	v_sub_f32_e32 v11, v59, v60
	;; [unrolled: 1-line block ×3, first 2 shown]
	v_add_f32_e32 v30, v25, v24
	v_add_f32_e32 v12, v5, v7
	;; [unrolled: 1-line block ×3, first 2 shown]
	v_sub_f32_e32 v35, v27, v11
	v_sub_f32_e32 v19, v11, v28
	v_add_f32_e32 v11, v11, v28
	v_sub_f32_e32 v38, v12, v31
	v_add_f32_e32 v39, v30, v31
	v_add_f32_e32 v53, v27, v11
	v_mul_f32_e32 v38, 0x3d64c772, v38
	v_add_f32_e32 v11, v12, v39
	v_sub_f32_e32 v37, v30, v12
	v_mul_f32_e32 v51, 0x3f08b237, v19
	v_mov_b32_e32 v19, v38
	v_add_f32_e32 v12, v55, v11
	v_add_f32_e32 v32, v57, v58
	;; [unrolled: 1-line block ×3, first 2 shown]
	v_mul_f32_e32 v57, 0x3f4a47b2, v37
	v_fmac_f32_e32 v19, 0x3f4a47b2, v37
	v_mov_b32_e32 v37, v12
	v_add_f32_e32 v33, v59, v60
	v_fmac_f32_e32 v37, 0xbf955555, v11
	v_add_f32_e32 v11, v32, v34
	v_sub_f32_e32 v40, v32, v33
	v_sub_f32_e32 v49, v33, v34
	v_add_f32_e32 v33, v33, v11
	v_sub_f32_e32 v5, v5, v7
	v_sub_f32_e32 v9, v26, v9
	;; [unrolled: 3-line block ×3, first 2 shown]
	v_sub_f32_e32 v7, v24, v5
	v_mul_f32_e32 v26, 0x3f08b237, v18
	v_add_f32_e32 v5, v5, v9
	v_sub_f32_e32 v27, v28, v27
	v_sub_f32_e32 v9, v9, v24
	v_mov_b32_e32 v60, v26
	v_add_f32_e32 v5, v24, v5
	v_mul_f32_e32 v25, 0xbf5ff5aa, v27
	v_sub_f32_e32 v30, v31, v30
	v_mul_f32_e32 v24, 0xbf5ff5aa, v9
	v_mul_f32_e32 v49, 0x3d64c772, v49
	v_mov_b32_e32 v58, v51
	v_mov_b32_e32 v59, v11
	v_fmac_f32_e32 v60, 0xbeae86e6, v7
	v_fma_f32 v28, v35, s7, -v25
	v_fma_f32 v25, v30, s6, -v57
	v_sub_f32_e32 v31, v34, v32
	v_fma_f32 v7, v7, s7, -v24
	v_fma_f32 v9, v9, s0, -v26
	v_mul_f32_e32 v39, 0x3f4a47b2, v40
	v_mov_b32_e32 v55, v49
	v_fmac_f32_e32 v58, 0xbeae86e6, v35
	v_fmac_f32_e32 v59, 0xbf955555, v33
	;; [unrolled: 1-line block ×4, first 2 shown]
	v_add_f32_e32 v33, v25, v37
	v_fmac_f32_e32 v7, 0xbee1c552, v5
	v_fma_f32 v30, v30, s1, -v38
	v_fmac_f32_e32 v9, 0xbee1c552, v5
	v_fma_f32 v5, v31, s1, -v49
	s_waitcnt vmcnt(2)
	v_mul_f32_e32 v49, v6, v20
	v_mul_f32_e32 v6, v6, v21
	v_fmac_f32_e32 v55, 0x3f4a47b2, v40
	v_fmac_f32_e32 v58, 0xbee1c552, v53
	v_add_f32_e32 v40, v19, v37
	v_add_f32_e32 v25, v28, v33
	v_fma_f32 v32, v31, s6, -v39
	v_add_f32_e32 v30, v30, v37
	v_fma_f32 v34, v27, s0, -v51
	v_sub_f32_e32 v33, v33, v28
	s_waitcnt vmcnt(1)
	v_mul_f32_e32 v28, v8, v43
	v_mul_f32_e32 v37, v16, v41
	;; [unrolled: 1-line block ×4, first 2 shown]
	v_fma_f32 v20, v50, v20, -v6
	s_waitcnt vmcnt(0)
	v_mul_f32_e32 v6, v15, v48
	v_add_f32_e32 v19, v58, v40
	v_add_f32_e32 v32, v32, v59
	v_fmac_f32_e32 v34, 0xbee1c552, v53
	v_add_f32_e32 v5, v5, v59
	v_sub_f32_e32 v35, v40, v58
	v_fmac_f32_e32 v37, v13, v42
	v_mul_f32_e32 v40, v15, v47
	v_fma_f32 v13, v13, v41, -v16
	v_fma_f32 v16, v52, v43, -v8
	s_waitcnt lgkmcnt(0)
	v_fma_f32 v15, v29, v47, -v6
	v_sub_f32_e32 v24, v32, v7
	v_sub_f32_e32 v27, v30, v34
	v_add_f32_e32 v26, v9, v5
	v_add_f32_e32 v31, v34, v30
	v_sub_f32_e32 v30, v5, v9
	v_add_f32_e32 v32, v7, v32
	v_mul_f32_e32 v5, v17, v45
	v_mul_f32_e32 v7, v10, v22
	v_fmac_f32_e32 v49, v50, v21
	v_mul_f32_e32 v10, v10, v23
	v_mul_f32_e32 v17, v17, v46
	v_add_f32_e32 v8, v16, v13
	v_add_f32_e32 v21, v15, v20
	v_fma_f32 v10, v54, v22, -v10
	v_fma_f32 v17, v56, v45, -v17
	v_sub_f32_e32 v6, v8, v21
	v_fmac_f32_e32 v40, v29, v48
	v_add_f32_e32 v22, v17, v10
	v_mul_f32_e32 v29, 0x3d64c772, v6
	v_fmac_f32_e32 v5, v56, v46
	v_fmac_f32_e32 v7, v54, v23
	;; [unrolled: 1-line block ×3, first 2 shown]
	v_sub_f32_e32 v23, v22, v8
	v_mov_b32_e32 v42, v29
	v_sub_f32_e32 v9, v5, v7
	v_sub_f32_e32 v38, v28, v37
	v_mul_f32_e32 v41, 0x3f4a47b2, v23
	v_fmac_f32_e32 v42, 0x3f4a47b2, v23
	v_add_f32_e32 v23, v5, v7
	v_add_f32_e32 v5, v28, v37
	;; [unrolled: 1-line block ×3, first 2 shown]
	v_sub_f32_e32 v51, v40, v49
	v_sub_f32_e32 v40, v5, v37
	v_mul_f32_e32 v40, 0x3d64c772, v40
	v_sub_f32_e32 v7, v23, v5
	v_mov_b32_e32 v43, v40
	v_mul_f32_e32 v28, 0x3f4a47b2, v7
	v_fmac_f32_e32 v43, 0x3f4a47b2, v7
	v_add_f32_e32 v7, v23, v37
	v_add_f32_e32 v6, v22, v21
	;; [unrolled: 1-line block ×3, first 2 shown]
	v_sub_f32_e32 v53, v38, v51
	v_add_f32_e32 v8, v8, v6
	v_add_f32_e32 v5, v14, v7
	;; [unrolled: 1-line block ×3, first 2 shown]
	v_sub_f32_e32 v39, v9, v38
	v_mul_f32_e32 v53, 0x3f08b237, v53
	v_add_f32_e32 v38, v38, v51
	v_add_f32_e32 v6, v0, v8
	v_mov_b32_e32 v44, v5
	v_sub_f32_e32 v15, v15, v20
	v_sub_f32_e32 v20, v51, v9
	;; [unrolled: 1-line block ×3, first 2 shown]
	v_add_f32_e32 v34, v60, v55
	v_mov_b32_e32 v55, v53
	v_add_f32_e32 v38, v9, v38
	v_mov_b32_e32 v0, v6
	v_fmac_f32_e32 v44, 0xbf955555, v7
	v_sub_f32_e32 v7, v16, v13
	v_mul_f32_e32 v9, 0xbf5ff5aa, v20
	v_sub_f32_e32 v21, v21, v22
	v_fmac_f32_e32 v55, 0xbeae86e6, v39
	v_fmac_f32_e32 v0, 0xbf955555, v8
	v_sub_f32_e32 v14, v17, v10
	v_sub_f32_e32 v10, v7, v15
	v_fma_f32 v39, v39, s7, -v9
	v_fma_f32 v9, v21, s6, -v41
	v_sub_f32_e32 v23, v37, v23
	v_sub_f32_e32 v13, v14, v7
	v_mul_f32_e32 v16, 0x3f08b237, v10
	v_add_f32_e32 v7, v7, v15
	v_add_f32_e32 v22, v9, v0
	v_fma_f32 v9, v23, s6, -v28
	v_sub_f32_e32 v15, v15, v14
	v_mov_b32_e32 v45, v16
	v_add_f32_e32 v28, v9, v44
	v_mul_f32_e32 v9, 0xbf5ff5aa, v15
	v_fmac_f32_e32 v45, 0xbeae86e6, v13
	v_fma_f32 v37, v13, s7, -v9
	v_fma_f32 v13, v21, s1, -v29
	v_add_f32_e32 v42, v42, v0
	v_add_f32_e32 v0, v13, v0
	v_lshrrev_b32_e32 v13, 2, v36
	v_mul_hi_u32 v13, v13, s4
	v_fma_f32 v29, v15, s0, -v16
	v_fma_f32 v20, v20, s0, -v53
	v_fmac_f32_e32 v55, 0xbee1c552, v38
	v_lshrrev_b32_e32 v13, 3, v13
	v_mul_lo_u32 v15, v13, s5
	v_fmac_f32_e32 v39, 0xbee1c552, v38
	v_fmac_f32_e32 v20, 0xbee1c552, v38
	v_fma_f32 v13, v23, s1, -v40
	v_sub_u32_e32 v38, v36, v15
	v_mad_u64_u32 v[15:16], s[0:1], s2, v38, 0
	v_add_f32_e32 v17, v14, v7
	v_fmac_f32_e32 v45, 0xbee1c552, v17
	v_fmac_f32_e32 v37, 0xbee1c552, v17
	v_sub_f32_e32 v14, v0, v20
	v_fmac_f32_e32 v29, 0xbee1c552, v17
	v_add_f32_e32 v17, v13, v44
	v_add_f32_e32 v21, v20, v0
	v_mov_b32_e32 v0, v16
	v_add_f32_e32 v13, v29, v17
	v_sub_f32_e32 v20, v17, v29
	v_mad_u64_u32 v[16:17], s[0:1], s3, v38, v[0:1]
	v_add_f32_e32 v10, v39, v22
	v_sub_f32_e32 v9, v28, v37
	v_sub_f32_e32 v23, v22, v39
	v_add_f32_e32 v22, v37, v28
	v_mov_b32_e32 v0, s11
	v_add_co_u32_e32 v17, vcc, s10, v3
	v_add_u32_e32 v37, 0xfc, v38
	v_addc_co_u32_e32 v4, vcc, v0, v4, vcc
	v_lshlrev_b64 v[0:1], 3, v[1:2]
	v_mad_u64_u32 v[2:3], s[0:1], s2, v37, 0
	v_add_co_u32_e32 v17, vcc, v17, v0
	v_addc_co_u32_e32 v39, vcc, v4, v1, vcc
	v_lshlrev_b64 v[0:1], 3, v[15:16]
	v_mad_u64_u32 v[3:4], s[0:1], s3, v37, v[3:4]
	v_add_co_u32_e32 v0, vcc, v17, v0
	v_addc_co_u32_e32 v1, vcc, v39, v1, vcc
	v_add_u32_e32 v4, 0x1f8, v38
	global_store_dwordx2 v[0:1], v[5:6], off
	v_lshlrev_b64 v[0:1], 3, v[2:3]
	v_mad_u64_u32 v[2:3], s[0:1], s2, v4, 0
	v_add_u32_e32 v6, 0x2f4, v38
	v_add_f32_e32 v43, v43, v44
	v_mad_u64_u32 v[3:4], s[0:1], s3, v4, v[3:4]
	v_mad_u64_u32 v[4:5], s[0:1], s2, v6, 0
	v_add_co_u32_e32 v0, vcc, v17, v0
	v_sub_f32_e32 v29, v42, v55
	v_add_f32_e32 v28, v45, v43
	v_addc_co_u32_e32 v1, vcc, v39, v1, vcc
	global_store_dwordx2 v[0:1], v[28:29], off
	v_lshlrev_b64 v[0:1], 3, v[2:3]
	v_mov_b32_e32 v2, v5
	v_mad_u64_u32 v[2:3], s[0:1], s3, v6, v[2:3]
	v_add_co_u32_e32 v0, vcc, v17, v0
	v_addc_co_u32_e32 v1, vcc, v39, v1, vcc
	v_mov_b32_e32 v5, v2
	global_store_dwordx2 v[0:1], v[22:23], off
	v_lshlrev_b64 v[0:1], 3, v[4:5]
	v_add_u32_e32 v4, 0x3f0, v38
	v_mad_u64_u32 v[2:3], s[0:1], s2, v4, 0
	v_add_u32_e32 v6, 0x4ec, v38
	v_add_co_u32_e32 v0, vcc, v17, v0
	v_mad_u64_u32 v[3:4], s[0:1], s3, v4, v[3:4]
	v_mad_u64_u32 v[4:5], s[0:1], s2, v6, 0
	v_addc_co_u32_e32 v1, vcc, v39, v1, vcc
	global_store_dwordx2 v[0:1], v[20:21], off
	v_lshlrev_b64 v[0:1], 3, v[2:3]
	v_mov_b32_e32 v2, v5
	v_mad_u64_u32 v[2:3], s[0:1], s3, v6, v[2:3]
	v_add_co_u32_e32 v0, vcc, v17, v0
	v_addc_co_u32_e32 v1, vcc, v39, v1, vcc
	v_mov_b32_e32 v5, v2
	global_store_dwordx2 v[0:1], v[13:14], off
	v_lshlrev_b64 v[0:1], 3, v[4:5]
	v_add_u32_e32 v4, 0x7e, v36
	v_lshrrev_b32_e32 v2, 2, v4
	v_mul_hi_u32 v5, v2, s4
	v_add_u32_e32 v6, 0x5e8, v38
	v_mad_u64_u32 v[2:3], s[0:1], s2, v6, 0
	v_lshrrev_b32_e32 v5, 3, v5
	v_mul_lo_u32 v13, v5, s5
	s_movk_i32 s0, 0x6e4
	v_add_co_u32_e32 v0, vcc, v17, v0
	v_sub_u32_e32 v4, v4, v13
	v_mad_u64_u32 v[4:5], s[0:1], v5, s0, v[4:5]
	v_addc_co_u32_e32 v1, vcc, v39, v1, vcc
	v_mad_u64_u32 v[5:6], s[0:1], s3, v6, v[3:4]
	v_mad_u64_u32 v[13:14], s[0:1], s2, v4, 0
	v_mov_b32_e32 v3, v5
	global_store_dwordx2 v[0:1], v[9:10], off
	v_lshlrev_b64 v[0:1], 3, v[2:3]
	v_mov_b32_e32 v2, v14
	v_mad_u64_u32 v[2:3], s[0:1], s3, v4, v[2:3]
	v_add_u32_e32 v5, 0xfc, v4
	v_add_co_u32_e32 v0, vcc, v17, v0
	v_mov_b32_e32 v14, v2
	v_mad_u64_u32 v[2:3], s[0:1], s2, v5, 0
	v_add_f32_e32 v8, v55, v42
	v_sub_f32_e32 v7, v43, v45
	v_addc_co_u32_e32 v1, vcc, v39, v1, vcc
	global_store_dwordx2 v[0:1], v[7:8], off
	v_mad_u64_u32 v[5:6], s[0:1], s3, v5, v[3:4]
	v_add_u32_e32 v8, 0x1f8, v4
	v_lshlrev_b64 v[0:1], 3, v[13:14]
	v_mad_u64_u32 v[6:7], s[0:1], s2, v8, 0
	v_add_co_u32_e32 v0, vcc, v17, v0
	v_addc_co_u32_e32 v1, vcc, v39, v1, vcc
	v_mov_b32_e32 v3, v5
	global_store_dwordx2 v[0:1], v[11:12], off
	v_lshlrev_b64 v[0:1], 3, v[2:3]
	v_mov_b32_e32 v2, v7
	v_mad_u64_u32 v[2:3], s[0:1], s3, v8, v[2:3]
	v_add_u32_e32 v5, 0x2f4, v4
	v_add_co_u32_e32 v0, vcc, v17, v0
	v_mov_b32_e32 v7, v2
	v_mad_u64_u32 v[2:3], s[0:1], s2, v5, 0
	v_addc_co_u32_e32 v1, vcc, v39, v1, vcc
	global_store_dwordx2 v[0:1], v[34:35], off
	v_lshlrev_b64 v[0:1], 3, v[6:7]
	v_mad_u64_u32 v[5:6], s[0:1], s3, v5, v[3:4]
	v_add_u32_e32 v8, 0x3f0, v4
	v_mad_u64_u32 v[6:7], s[0:1], s2, v8, 0
	v_add_co_u32_e32 v0, vcc, v17, v0
	v_addc_co_u32_e32 v1, vcc, v39, v1, vcc
	v_mov_b32_e32 v3, v5
	global_store_dwordx2 v[0:1], v[32:33], off
	v_lshlrev_b64 v[0:1], 3, v[2:3]
	v_mov_b32_e32 v2, v7
	v_mad_u64_u32 v[2:3], s[0:1], s3, v8, v[2:3]
	v_add_u32_e32 v5, 0x4ec, v4
	v_add_co_u32_e32 v0, vcc, v17, v0
	v_mov_b32_e32 v7, v2
	v_mad_u64_u32 v[2:3], s[0:1], s2, v5, 0
	v_addc_co_u32_e32 v1, vcc, v39, v1, vcc
	global_store_dwordx2 v[0:1], v[30:31], off
	v_lshlrev_b64 v[0:1], 3, v[6:7]
	v_mad_u64_u32 v[5:6], s[0:1], s3, v5, v[3:4]
	v_add_u32_e32 v4, 0x5e8, v4
	v_mad_u64_u32 v[6:7], s[0:1], s2, v4, 0
	v_add_co_u32_e32 v0, vcc, v17, v0
	v_addc_co_u32_e32 v1, vcc, v39, v1, vcc
	v_mov_b32_e32 v3, v5
	global_store_dwordx2 v[0:1], v[26:27], off
	v_lshlrev_b64 v[0:1], 3, v[2:3]
	v_mov_b32_e32 v2, v7
	v_mad_u64_u32 v[2:3], s[0:1], s3, v4, v[2:3]
	v_add_co_u32_e32 v0, vcc, v17, v0
	v_addc_co_u32_e32 v1, vcc, v39, v1, vcc
	v_mov_b32_e32 v7, v2
	global_store_dwordx2 v[0:1], v[24:25], off
	v_lshlrev_b64 v[0:1], 3, v[6:7]
	v_add_co_u32_e32 v0, vcc, v17, v0
	v_addc_co_u32_e32 v1, vcc, v39, v1, vcc
	global_store_dwordx2 v[0:1], v[18:19], off
.LBB0_31:
	s_endpgm
	.section	.rodata,"a",@progbits
	.p2align	6, 0x0
	.amdhsa_kernel fft_rtc_back_len1764_factors_2_2_3_3_7_7_wgs_126_tpt_126_halfLds_sp_op_CI_CI_sbrr_dirReg
		.amdhsa_group_segment_fixed_size 0
		.amdhsa_private_segment_fixed_size 0
		.amdhsa_kernarg_size 104
		.amdhsa_user_sgpr_count 6
		.amdhsa_user_sgpr_private_segment_buffer 1
		.amdhsa_user_sgpr_dispatch_ptr 0
		.amdhsa_user_sgpr_queue_ptr 0
		.amdhsa_user_sgpr_kernarg_segment_ptr 1
		.amdhsa_user_sgpr_dispatch_id 0
		.amdhsa_user_sgpr_flat_scratch_init 0
		.amdhsa_user_sgpr_private_segment_size 0
		.amdhsa_uses_dynamic_stack 0
		.amdhsa_system_sgpr_private_segment_wavefront_offset 0
		.amdhsa_system_sgpr_workgroup_id_x 1
		.amdhsa_system_sgpr_workgroup_id_y 0
		.amdhsa_system_sgpr_workgroup_id_z 0
		.amdhsa_system_sgpr_workgroup_info 0
		.amdhsa_system_vgpr_workitem_id 0
		.amdhsa_next_free_vgpr 82
		.amdhsa_next_free_sgpr 32
		.amdhsa_reserve_vcc 1
		.amdhsa_reserve_flat_scratch 0
		.amdhsa_float_round_mode_32 0
		.amdhsa_float_round_mode_16_64 0
		.amdhsa_float_denorm_mode_32 3
		.amdhsa_float_denorm_mode_16_64 3
		.amdhsa_dx10_clamp 1
		.amdhsa_ieee_mode 1
		.amdhsa_fp16_overflow 0
		.amdhsa_exception_fp_ieee_invalid_op 0
		.amdhsa_exception_fp_denorm_src 0
		.amdhsa_exception_fp_ieee_div_zero 0
		.amdhsa_exception_fp_ieee_overflow 0
		.amdhsa_exception_fp_ieee_underflow 0
		.amdhsa_exception_fp_ieee_inexact 0
		.amdhsa_exception_int_div_zero 0
	.end_amdhsa_kernel
	.text
.Lfunc_end0:
	.size	fft_rtc_back_len1764_factors_2_2_3_3_7_7_wgs_126_tpt_126_halfLds_sp_op_CI_CI_sbrr_dirReg, .Lfunc_end0-fft_rtc_back_len1764_factors_2_2_3_3_7_7_wgs_126_tpt_126_halfLds_sp_op_CI_CI_sbrr_dirReg
                                        ; -- End function
	.section	.AMDGPU.csdata,"",@progbits
; Kernel info:
; codeLenInByte = 10284
; NumSgprs: 36
; NumVgprs: 82
; ScratchSize: 0
; MemoryBound: 0
; FloatMode: 240
; IeeeMode: 1
; LDSByteSize: 0 bytes/workgroup (compile time only)
; SGPRBlocks: 4
; VGPRBlocks: 20
; NumSGPRsForWavesPerEU: 36
; NumVGPRsForWavesPerEU: 82
; Occupancy: 3
; WaveLimiterHint : 1
; COMPUTE_PGM_RSRC2:SCRATCH_EN: 0
; COMPUTE_PGM_RSRC2:USER_SGPR: 6
; COMPUTE_PGM_RSRC2:TRAP_HANDLER: 0
; COMPUTE_PGM_RSRC2:TGID_X_EN: 1
; COMPUTE_PGM_RSRC2:TGID_Y_EN: 0
; COMPUTE_PGM_RSRC2:TGID_Z_EN: 0
; COMPUTE_PGM_RSRC2:TIDIG_COMP_CNT: 0
	.type	__hip_cuid_63311657b1ff664a,@object ; @__hip_cuid_63311657b1ff664a
	.section	.bss,"aw",@nobits
	.globl	__hip_cuid_63311657b1ff664a
__hip_cuid_63311657b1ff664a:
	.byte	0                               ; 0x0
	.size	__hip_cuid_63311657b1ff664a, 1

	.ident	"AMD clang version 19.0.0git (https://github.com/RadeonOpenCompute/llvm-project roc-6.4.0 25133 c7fe45cf4b819c5991fe208aaa96edf142730f1d)"
	.section	".note.GNU-stack","",@progbits
	.addrsig
	.addrsig_sym __hip_cuid_63311657b1ff664a
	.amdgpu_metadata
---
amdhsa.kernels:
  - .args:
      - .actual_access:  read_only
        .address_space:  global
        .offset:         0
        .size:           8
        .value_kind:     global_buffer
      - .offset:         8
        .size:           8
        .value_kind:     by_value
      - .actual_access:  read_only
        .address_space:  global
        .offset:         16
        .size:           8
        .value_kind:     global_buffer
      - .actual_access:  read_only
        .address_space:  global
        .offset:         24
        .size:           8
        .value_kind:     global_buffer
      - .actual_access:  read_only
        .address_space:  global
        .offset:         32
        .size:           8
        .value_kind:     global_buffer
      - .offset:         40
        .size:           8
        .value_kind:     by_value
      - .actual_access:  read_only
        .address_space:  global
        .offset:         48
        .size:           8
        .value_kind:     global_buffer
      - .actual_access:  read_only
        .address_space:  global
        .offset:         56
        .size:           8
        .value_kind:     global_buffer
      - .offset:         64
        .size:           4
        .value_kind:     by_value
      - .actual_access:  read_only
        .address_space:  global
        .offset:         72
        .size:           8
        .value_kind:     global_buffer
      - .actual_access:  read_only
        .address_space:  global
        .offset:         80
        .size:           8
        .value_kind:     global_buffer
      - .actual_access:  read_only
        .address_space:  global
        .offset:         88
        .size:           8
        .value_kind:     global_buffer
      - .actual_access:  write_only
        .address_space:  global
        .offset:         96
        .size:           8
        .value_kind:     global_buffer
    .group_segment_fixed_size: 0
    .kernarg_segment_align: 8
    .kernarg_segment_size: 104
    .language:       OpenCL C
    .language_version:
      - 2
      - 0
    .max_flat_workgroup_size: 126
    .name:           fft_rtc_back_len1764_factors_2_2_3_3_7_7_wgs_126_tpt_126_halfLds_sp_op_CI_CI_sbrr_dirReg
    .private_segment_fixed_size: 0
    .sgpr_count:     36
    .sgpr_spill_count: 0
    .symbol:         fft_rtc_back_len1764_factors_2_2_3_3_7_7_wgs_126_tpt_126_halfLds_sp_op_CI_CI_sbrr_dirReg.kd
    .uniform_work_group_size: 1
    .uses_dynamic_stack: false
    .vgpr_count:     82
    .vgpr_spill_count: 0
    .wavefront_size: 64
amdhsa.target:   amdgcn-amd-amdhsa--gfx906
amdhsa.version:
  - 1
  - 2
...

	.end_amdgpu_metadata
